;; amdgpu-corpus repo=ROCm/rocFFT kind=compiled arch=gfx950 opt=O3
	.text
	.amdgcn_target "amdgcn-amd-amdhsa--gfx950"
	.amdhsa_code_object_version 6
	.protected	fft_rtc_back_len121_factors_11_11_wgs_121_tpt_11_dp_ip_CI_sbcc_twdbase5_3step_dirReg_intrinsicRead ; -- Begin function fft_rtc_back_len121_factors_11_11_wgs_121_tpt_11_dp_ip_CI_sbcc_twdbase5_3step_dirReg_intrinsicRead
	.globl	fft_rtc_back_len121_factors_11_11_wgs_121_tpt_11_dp_ip_CI_sbcc_twdbase5_3step_dirReg_intrinsicRead
	.p2align	8
	.type	fft_rtc_back_len121_factors_11_11_wgs_121_tpt_11_dp_ip_CI_sbcc_twdbase5_3step_dirReg_intrinsicRead,@function
fft_rtc_back_len121_factors_11_11_wgs_121_tpt_11_dp_ip_CI_sbcc_twdbase5_3step_dirReg_intrinsicRead: ; @fft_rtc_back_len121_factors_11_11_wgs_121_tpt_11_dp_ip_CI_sbcc_twdbase5_3step_dirReg_intrinsicRead
; %bb.0:
	s_load_dwordx8 s[4:11], s[0:1], 0x8
	s_movk_i32 s3, 0x60
	v_cmp_gt_u32_e32 vcc, s3, v0
	s_and_saveexec_b64 s[12:13], vcc
	s_cbranch_execz .LBB0_2
; %bb.1:
	v_lshlrev_b32_e32 v1, 4, v0
	s_waitcnt lgkmcnt(0)
	global_load_dwordx4 v[2:5], v1, s[4:5]
	v_add_u32_e32 v1, 0, v1
	v_add_u32_e32 v1, 0x5330, v1
	s_waitcnt vmcnt(0)
	ds_write2_b64 v1, v[2:3], v[4:5] offset1:1
.LBB0_2:
	s_or_b64 exec, exec, s[12:13]
	s_waitcnt lgkmcnt(0)
	s_load_dwordx2 s[16:17], s[8:9], 0x8
	s_mov_b32 s3, 0
	s_mov_b64 s[22:23], 0
	s_waitcnt lgkmcnt(0)
	s_add_u32 s4, s16, -1
	s_addc_u32 s5, s17, -1
	s_add_u32 s12, 0, 0x5d161400
	s_addc_u32 s13, 0, 0x54
	s_mul_hi_u32 s15, s12, -11
	s_add_i32 s13, s13, 0x1745d120
	s_sub_i32 s15, s15, s12
	s_mul_i32 s20, s13, -11
	s_mul_i32 s14, s12, -11
	s_add_i32 s15, s15, s20
	s_mul_hi_u32 s18, s13, s14
	s_mul_i32 s19, s13, s14
	s_mul_i32 s21, s12, s15
	s_mul_hi_u32 s14, s12, s14
	s_mul_hi_u32 s20, s12, s15
	s_add_u32 s14, s14, s21
	s_addc_u32 s20, 0, s20
	s_add_u32 s14, s14, s19
	s_mul_hi_u32 s21, s13, s15
	s_addc_u32 s14, s20, s18
	s_addc_u32 s18, s21, 0
	s_mul_i32 s15, s13, s15
	s_add_u32 s14, s14, s15
	v_mov_b32_e32 v1, s14
	s_addc_u32 s15, 0, s18
	v_add_co_u32_e32 v1, vcc, s12, v1
	s_cmp_lg_u64 vcc, 0
	s_addc_u32 s12, s13, s15
	v_readfirstlane_b32 s15, v1
	s_mul_i32 s14, s4, s12
	s_mul_hi_u32 s18, s4, s15
	s_mul_hi_u32 s13, s4, s12
	s_add_u32 s14, s18, s14
	s_addc_u32 s13, 0, s13
	s_mul_hi_u32 s19, s5, s15
	s_mul_i32 s15, s5, s15
	s_add_u32 s14, s14, s15
	s_mul_hi_u32 s18, s5, s12
	s_addc_u32 s13, s13, s19
	s_addc_u32 s14, s18, 0
	s_mul_i32 s12, s5, s12
	s_add_u32 s12, s13, s12
	s_addc_u32 s13, 0, s14
	s_add_u32 s14, s12, 1
	s_addc_u32 s15, s13, 0
	s_add_u32 s18, s12, 2
	s_mul_i32 s20, s13, 11
	s_mul_hi_u32 s21, s12, 11
	s_addc_u32 s19, s13, 0
	s_add_i32 s21, s21, s20
	s_mul_i32 s20, s12, 11
	v_mov_b32_e32 v1, s20
	v_sub_co_u32_e32 v1, vcc, s4, v1
	s_cmp_lg_u64 vcc, 0
	s_subb_u32 s4, s5, s21
	v_subrev_co_u32_e32 v2, vcc, 11, v1
	s_cmp_lg_u64 vcc, 0
	s_subb_u32 s5, s4, 0
	v_readfirstlane_b32 s20, v2
	s_cmp_gt_u32 s20, 10
	s_cselect_b32 s20, -1, 0
	s_cmp_eq_u32 s5, 0
	s_cselect_b32 s5, s20, -1
	s_cmp_lg_u32 s5, 0
	s_cselect_b32 s5, s18, s14
	s_cselect_b32 s14, s19, s15
	v_readfirstlane_b32 s15, v1
	s_cmp_gt_u32 s15, 10
	s_cselect_b32 s15, -1, 0
	s_cmp_eq_u32 s4, 0
	s_cselect_b32 s4, s15, -1
	s_cmp_lg_u32 s4, 0
	s_cselect_b32 s5, s5, s12
	s_cselect_b32 s4, s14, s13
	s_add_u32 s18, s5, 1
	s_addc_u32 s19, s4, 0
	v_mov_b64_e32 v[2:3], s[18:19]
	v_cmp_lt_u64_e32 vcc, s[2:3], v[2:3]
	s_cbranch_vccnz .LBB0_4
; %bb.3:
	v_cvt_f32_u32_e32 v1, s18
	s_sub_i32 s4, 0, s18
	s_mov_b32 s23, s3
	v_rcp_iflag_f32_e32 v1, v1
	s_nop 0
	v_mul_f32_e32 v1, 0x4f7ffffe, v1
	v_cvt_u32_f32_e32 v1, v1
	s_nop 0
	v_readfirstlane_b32 s5, v1
	s_mul_i32 s4, s4, s5
	s_mul_hi_u32 s4, s5, s4
	s_add_i32 s5, s5, s4
	s_mul_hi_u32 s4, s2, s5
	s_mul_i32 s12, s4, s18
	s_sub_i32 s12, s2, s12
	s_add_i32 s5, s4, 1
	s_sub_i32 s13, s12, s18
	s_cmp_ge_u32 s12, s18
	s_cselect_b32 s4, s5, s4
	s_cselect_b32 s12, s13, s12
	s_add_i32 s5, s4, 1
	s_cmp_ge_u32 s12, s18
	s_cselect_b32 s22, s5, s4
.LBB0_4:
	s_load_dwordx2 s[4:5], s[0:1], 0x58
	s_load_dwordx2 s[36:37], s[0:1], 0x0
	s_load_dwordx4 s[12:15], s[10:11], 0x0
	s_mul_i32 s0, s22, s19
	s_mul_hi_u32 s1, s22, s18
	s_add_i32 s1, s1, s0
	s_mul_i32 s0, s22, s18
	s_sub_u32 s0, s2, s0
	s_subb_u32 s1, 0, s1
	s_mul_i32 s1, s1, 11
	s_mul_hi_u32 s20, s0, 11
	s_add_i32 s21, s20, s1
	s_mul_i32 s20, s0, 11
	s_waitcnt lgkmcnt(0)
	s_mul_i32 s0, s14, s21
	s_mul_hi_u32 s1, s14, s20
	s_add_i32 s0, s1, s0
	s_mul_i32 s1, s15, s20
	s_add_i32 s33, s0, s1
	v_cmp_lt_u64_e64 s[0:1], s[6:7], 3
	s_mul_i32 s38, s14, s20
	s_and_b64 vcc, exec, s[0:1]
	s_cbranch_vccnz .LBB0_14
; %bb.5:
	s_add_u32 s24, s10, 16
	s_addc_u32 s25, s11, 0
	s_add_u32 s8, s8, 16
	s_addc_u32 s9, s9, 0
	s_mov_b64 s[26:27], 2
	s_mov_b32 s28, 0
	v_mov_b64_e32 v[2:3], s[6:7]
.LBB0_6:                                ; =>This Inner Loop Header: Depth=1
	s_load_dwordx2 s[30:31], s[8:9], 0x0
	s_waitcnt lgkmcnt(0)
	s_or_b64 s[0:1], s[22:23], s[30:31]
	s_mov_b32 s29, s1
	s_cmp_lg_u64 s[28:29], 0
	s_cbranch_scc0 .LBB0_11
; %bb.7:                                ;   in Loop: Header=BB0_6 Depth=1
	v_cvt_f32_u32_e32 v1, s30
	v_cvt_f32_u32_e32 v4, s31
	s_sub_u32 s0, 0, s30
	s_subb_u32 s1, 0, s31
	v_fmac_f32_e32 v1, 0x4f800000, v4
	v_rcp_f32_e32 v1, v1
	s_nop 0
	v_mul_f32_e32 v1, 0x5f7ffffc, v1
	v_mul_f32_e32 v4, 0x2f800000, v1
	v_trunc_f32_e32 v4, v4
	v_fmac_f32_e32 v1, 0xcf800000, v4
	v_cvt_u32_f32_e32 v4, v4
	v_cvt_u32_f32_e32 v1, v1
	v_readfirstlane_b32 s29, v4
	v_readfirstlane_b32 s34, v1
	s_mul_i32 s35, s0, s29
	s_mul_hi_u32 s40, s0, s34
	s_mul_i32 s39, s1, s34
	s_add_i32 s35, s40, s35
	s_mul_i32 s41, s0, s34
	s_add_i32 s35, s35, s39
	s_mul_hi_u32 s39, s34, s35
	s_mul_i32 s40, s34, s35
	s_mul_hi_u32 s34, s34, s41
	s_add_u32 s34, s34, s40
	s_addc_u32 s39, 0, s39
	s_mul_hi_u32 s42, s29, s41
	s_mul_i32 s41, s29, s41
	s_add_u32 s34, s34, s41
	s_mul_hi_u32 s40, s29, s35
	s_addc_u32 s34, s39, s42
	s_addc_u32 s39, s40, 0
	s_mul_i32 s35, s29, s35
	s_add_u32 s34, s34, s35
	s_addc_u32 s35, 0, s39
	v_add_co_u32_e32 v1, vcc, s34, v1
	s_cmp_lg_u64 vcc, 0
	s_addc_u32 s29, s29, s35
	v_readfirstlane_b32 s35, v1
	s_mul_i32 s34, s0, s29
	s_mul_hi_u32 s39, s0, s35
	s_add_i32 s34, s39, s34
	s_mul_i32 s1, s1, s35
	s_add_i32 s34, s34, s1
	s_mul_i32 s0, s0, s35
	s_mul_hi_u32 s39, s29, s0
	s_mul_i32 s40, s29, s0
	s_mul_i32 s42, s35, s34
	s_mul_hi_u32 s0, s35, s0
	s_mul_hi_u32 s41, s35, s34
	s_add_u32 s0, s0, s42
	s_addc_u32 s35, 0, s41
	s_add_u32 s0, s0, s40
	s_mul_hi_u32 s1, s29, s34
	s_addc_u32 s0, s35, s39
	s_addc_u32 s1, s1, 0
	s_mul_i32 s34, s29, s34
	s_add_u32 s0, s0, s34
	s_addc_u32 s1, 0, s1
	v_add_co_u32_e32 v1, vcc, s0, v1
	s_cmp_lg_u64 vcc, 0
	s_addc_u32 s0, s29, s1
	v_readfirstlane_b32 s34, v1
	s_mul_i32 s29, s22, s0
	s_mul_hi_u32 s35, s22, s34
	s_mul_hi_u32 s1, s22, s0
	s_add_u32 s29, s35, s29
	s_addc_u32 s1, 0, s1
	s_mul_hi_u32 s39, s23, s34
	s_mul_i32 s34, s23, s34
	s_add_u32 s29, s29, s34
	s_mul_hi_u32 s35, s23, s0
	s_addc_u32 s1, s1, s39
	s_addc_u32 s29, s35, 0
	s_mul_i32 s0, s23, s0
	s_add_u32 s34, s1, s0
	s_addc_u32 s29, 0, s29
	s_mul_i32 s0, s30, s29
	s_mul_hi_u32 s1, s30, s34
	s_add_i32 s0, s1, s0
	s_mul_i32 s1, s31, s34
	s_add_i32 s35, s0, s1
	s_mul_i32 s1, s30, s34
	v_mov_b32_e32 v1, s1
	s_sub_i32 s0, s23, s35
	v_sub_co_u32_e32 v1, vcc, s22, v1
	s_cmp_lg_u64 vcc, 0
	s_subb_u32 s39, s0, s31
	v_subrev_co_u32_e64 v4, s[0:1], s30, v1
	s_cmp_lg_u64 s[0:1], 0
	s_subb_u32 s0, s39, 0
	s_cmp_ge_u32 s0, s31
	v_readfirstlane_b32 s39, v4
	s_cselect_b32 s1, -1, 0
	s_cmp_ge_u32 s39, s30
	s_cselect_b32 s39, -1, 0
	s_cmp_eq_u32 s0, s31
	s_cselect_b32 s0, s39, s1
	s_add_u32 s1, s34, 1
	s_addc_u32 s39, s29, 0
	s_add_u32 s40, s34, 2
	s_addc_u32 s41, s29, 0
	s_cmp_lg_u32 s0, 0
	s_cselect_b32 s0, s40, s1
	s_cselect_b32 s1, s41, s39
	s_cmp_lg_u64 vcc, 0
	s_subb_u32 s35, s23, s35
	s_cmp_ge_u32 s35, s31
	v_readfirstlane_b32 s40, v1
	s_cselect_b32 s39, -1, 0
	s_cmp_ge_u32 s40, s30
	s_cselect_b32 s40, -1, 0
	s_cmp_eq_u32 s35, s31
	s_cselect_b32 s35, s40, s39
	s_cmp_lg_u32 s35, 0
	s_cselect_b32 s1, s1, s29
	s_cselect_b32 s0, s0, s34
	s_cbranch_execnz .LBB0_9
.LBB0_8:                                ;   in Loop: Header=BB0_6 Depth=1
	v_cvt_f32_u32_e32 v1, s30
	s_sub_i32 s0, 0, s30
	v_rcp_iflag_f32_e32 v1, v1
	s_nop 0
	v_mul_f32_e32 v1, 0x4f7ffffe, v1
	v_cvt_u32_f32_e32 v1, v1
	s_nop 0
	v_readfirstlane_b32 s1, v1
	s_mul_i32 s0, s0, s1
	s_mul_hi_u32 s0, s1, s0
	s_add_i32 s1, s1, s0
	s_mul_hi_u32 s0, s22, s1
	s_mul_i32 s29, s0, s30
	s_sub_i32 s29, s22, s29
	s_add_i32 s1, s0, 1
	s_sub_i32 s34, s29, s30
	s_cmp_ge_u32 s29, s30
	s_cselect_b32 s0, s1, s0
	s_cselect_b32 s29, s34, s29
	s_add_i32 s1, s0, 1
	s_cmp_ge_u32 s29, s30
	s_cselect_b32 s0, s1, s0
	s_mov_b32 s1, s28
.LBB0_9:                                ;   in Loop: Header=BB0_6 Depth=1
	s_mul_i32 s19, s30, s19
	s_mul_hi_u32 s29, s30, s18
	s_add_i32 s19, s29, s19
	s_mul_i32 s29, s31, s18
	s_add_i32 s19, s19, s29
	s_mul_i32 s29, s0, s31
	s_mul_hi_u32 s31, s0, s30
	s_load_dwordx2 s[34:35], s[24:25], 0x0
	s_add_i32 s29, s31, s29
	s_mul_i32 s31, s1, s30
	s_mul_i32 s18, s30, s18
	s_add_i32 s29, s29, s31
	s_mul_i32 s30, s0, s30
	s_sub_u32 s22, s22, s30
	s_subb_u32 s23, s23, s29
	s_waitcnt lgkmcnt(0)
	s_mul_i32 s23, s34, s23
	s_mul_hi_u32 s29, s34, s22
	s_add_i32 s23, s29, s23
	s_mul_i32 s29, s35, s22
	s_add_i32 s23, s23, s29
	s_mul_i32 s22, s34, s22
	s_add_u32 s38, s22, s38
	s_addc_u32 s33, s23, s33
	s_add_u32 s26, s26, 1
	s_addc_u32 s27, s27, 0
	;; [unrolled: 2-line block ×3, first 2 shown]
	s_add_u32 s8, s8, 8
	v_cmp_ge_u64_e32 vcc, s[26:27], v[2:3]
	s_addc_u32 s9, s9, 0
	s_cbranch_vccnz .LBB0_12
; %bb.10:                               ;   in Loop: Header=BB0_6 Depth=1
	s_mov_b64 s[22:23], s[0:1]
	s_branch .LBB0_6
.LBB0_11:                               ;   in Loop: Header=BB0_6 Depth=1
                                        ; implicit-def: $sgpr0_sgpr1
	s_branch .LBB0_8
.LBB0_12:
	v_mov_b64_e32 v[2:3], s[18:19]
	v_cmp_lt_u64_e32 vcc, s[2:3], v[2:3]
	s_mov_b64 s[22:23], 0
	s_cbranch_vccnz .LBB0_14
; %bb.13:
	v_cvt_f32_u32_e32 v1, s18
	s_sub_i32 s0, 0, s18
	v_rcp_iflag_f32_e32 v1, v1
	s_nop 0
	v_mul_f32_e32 v1, 0x4f7ffffe, v1
	v_cvt_u32_f32_e32 v1, v1
	s_nop 0
	v_readfirstlane_b32 s1, v1
	s_mul_i32 s0, s0, s1
	s_mul_hi_u32 s0, s1, s0
	s_add_i32 s1, s1, s0
	s_mul_hi_u32 s0, s2, s1
	s_mul_i32 s3, s0, s18
	s_sub_i32 s2, s2, s3
	s_add_i32 s1, s0, 1
	s_sub_i32 s3, s2, s18
	s_cmp_ge_u32 s2, s18
	s_cselect_b32 s0, s1, s0
	s_cselect_b32 s2, s3, s2
	s_add_i32 s1, s0, 1
	s_cmp_ge_u32 s2, s18
	s_cselect_b32 s22, s1, s0
.LBB0_14:
	s_lshl_b64 s[0:1], s[6:7], 3
	s_add_u32 s0, s10, s0
	s_addc_u32 s1, s11, s1
	s_load_dwordx2 s[0:1], s[0:1], 0x0
	s_mov_b32 s2, 0x1745d175
	v_mul_hi_u32 v62, v0, s2
	v_mul_u32_u24_e32 v1, 11, v62
	v_sub_u32_e32 v54, v0, v1
	s_waitcnt lgkmcnt(0)
	s_mul_i32 s1, s1, s22
	s_mul_hi_u32 s2, s0, s22
	s_mul_i32 s0, s0, s22
	s_add_i32 s1, s2, s1
	s_add_u32 s2, s0, s38
	s_addc_u32 s3, s1, s33
	s_add_u32 s0, s20, 11
	s_addc_u32 s1, s21, 0
	v_mov_b64_e32 v[2:3], s[16:17]
	v_cmp_le_u64_e32 vcc, s[0:1], v[2:3]
	v_mad_u64_u32 v[50:51], s[0:1], s14, v54, 0
	v_mov_b32_e32 v55, 0
	v_mov_b32_e32 v2, v51
	v_lshl_add_u64 v[52:53], s[20:21], 0, v[54:55]
	v_mad_u64_u32 v[2:3], s[0:1], s15, v54, v[2:3]
	v_cmp_gt_u64_e64 s[0:1], s[16:17], v[52:53]
	v_mov_b64_e32 v[36:37], 0
	v_mov_b32_e32 v51, v2
	s_or_b64 s[38:39], vcc, s[0:1]
	v_mov_b64_e32 v[4:5], v[36:37]
	v_mov_b64_e32 v[2:3], v[36:37]
	s_and_saveexec_b64 s[0:1], s[38:39]
	s_cbranch_execz .LBB0_16
; %bb.15:
	v_mul_lo_u32 v1, s12, v62
	v_add3_u32 v2, s2, v50, v1
	v_mov_b32_e32 v3, v55
	v_lshl_add_u64 v[2:3], v[2:3], 4, s[4:5]
	global_load_dwordx4 v[2:5], v[2:3], off
.LBB0_16:
	s_or_b64 exec, exec, s[0:1]
	v_mov_b64_e32 v[34:35], v[36:37]
	s_and_saveexec_b64 s[0:1], s[38:39]
	s_cbranch_execz .LBB0_18
; %bb.17:
	v_add_u32_e32 v1, 11, v62
	v_mul_lo_u32 v1, s12, v1
	v_add3_u32 v6, s2, v50, v1
	v_mov_b32_e32 v7, 0
	v_lshl_add_u64 v[6:7], v[6:7], 4, s[4:5]
	global_load_dwordx4 v[34:37], v[6:7], off
.LBB0_18:
	s_or_b64 exec, exec, s[0:1]
	v_mov_b64_e32 v[16:17], 0
	v_mov_b64_e32 v[32:33], v[16:17]
	v_mov_b64_e32 v[30:31], v[16:17]
	s_and_saveexec_b64 s[0:1], s[38:39]
	s_cbranch_execz .LBB0_20
; %bb.19:
	v_add_u32_e32 v1, 22, v62
	v_mul_lo_u32 v1, s12, v1
	v_add3_u32 v6, s2, v50, v1
	v_mov_b32_e32 v7, 0
	v_lshl_add_u64 v[6:7], v[6:7], 4, s[4:5]
	global_load_dwordx4 v[30:33], v[6:7], off
.LBB0_20:
	s_or_b64 exec, exec, s[0:1]
	v_mov_b64_e32 v[14:15], v[16:17]
	s_and_saveexec_b64 s[0:1], s[38:39]
	s_cbranch_execz .LBB0_22
; %bb.21:
	v_add_u32_e32 v1, 33, v62
	v_mul_lo_u32 v1, s12, v1
	v_add3_u32 v6, s2, v50, v1
	v_mov_b32_e32 v7, 0
	v_lshl_add_u64 v[6:7], v[6:7], 4, s[4:5]
	global_load_dwordx4 v[14:17], v[6:7], off
.LBB0_22:
	s_or_b64 exec, exec, s[0:1]
	v_mov_b64_e32 v[12:13], 0
	v_mov_b64_e32 v[20:21], v[12:13]
	v_mov_b64_e32 v[18:19], v[12:13]
	s_and_saveexec_b64 s[0:1], s[38:39]
	s_cbranch_execz .LBB0_24
; %bb.23:
	v_add_u32_e32 v1, 44, v62
	v_mul_lo_u32 v1, s12, v1
	v_add3_u32 v6, s2, v50, v1
	v_mov_b32_e32 v7, 0
	v_lshl_add_u64 v[6:7], v[6:7], 4, s[4:5]
	global_load_dwordx4 v[18:21], v[6:7], off
.LBB0_24:
	;; [unrolled: 26-line block ×4, first 2 shown]
	s_or_b64 exec, exec, s[0:1]
	v_mov_b64_e32 v[42:43], v[44:45]
	s_and_saveexec_b64 s[0:1], s[38:39]
	s_cbranch_execz .LBB0_34
; %bb.33:
	v_add_u32_e32 v1, 0x63, v62
	v_mul_lo_u32 v1, s12, v1
	v_add3_u32 v6, s2, v50, v1
	v_mov_b32_e32 v7, 0
	v_lshl_add_u64 v[6:7], v[6:7], 4, s[4:5]
	global_load_dwordx4 v[42:45], v[6:7], off
.LBB0_34:
	s_or_b64 exec, exec, s[0:1]
	v_mov_b64_e32 v[48:49], 0
	v_mov_b64_e32 v[46:47], v[48:49]
	s_and_saveexec_b64 s[0:1], s[38:39]
	s_cbranch_execz .LBB0_36
; %bb.35:
	v_add_u32_e32 v1, 0x6e, v62
	v_mul_lo_u32 v1, s12, v1
	v_add3_u32 v6, s2, v50, v1
	v_mov_b32_e32 v7, 0
	v_lshl_add_u64 v[6:7], v[6:7], 4, s[4:5]
	global_load_dwordx4 v[46:49], v[6:7], off
.LBB0_36:
	s_or_b64 exec, exec, s[0:1]
	s_waitcnt vmcnt(0)
	v_add_f64 v[8:9], v[4:5], v[36:37]
	v_add_f64 v[8:9], v[8:9], v[32:33]
	;; [unrolled: 1-line block ×16, first 2 shown]
	s_mov_b32 s6, 0xf8bb580b
	v_add_f64 v[6:7], v[6:7], v[38:39]
	v_add_f64 v[8:9], v[8:9], v[48:49]
	;; [unrolled: 1-line block ×3, first 2 shown]
	v_add_f64 v[48:49], v[36:37], -v[48:49]
	s_mov_b32 s7, 0xbfe14ced
	s_mov_b32 s0, 0x8764f0ba
	s_mov_b32 s24, 0x8eee2c13
	s_mov_b32 s18, 0x43842ef
	s_mov_b32 s20, 0xbb3a28a1
	s_mov_b32 s22, 0xfd768dbf
	v_add_f64 v[6:7], v[6:7], v[42:43]
	v_add_f64 v[58:59], v[34:35], v[46:47]
	v_mul_f64 v[60:61], v[48:49], s[6:7]
	s_mov_b32 s1, 0x3feaeb8c
	s_mov_b32 s25, 0xbfed1bb4
	;; [unrolled: 1-line block ×9, first 2 shown]
	v_add_f64 v[6:7], v[6:7], v[46:47]
	v_add_f64 v[46:47], v[34:35], -v[46:47]
	v_add_f64 v[36:37], v[30:31], v[42:43]
	v_add_f64 v[34:35], v[32:33], v[44:45]
	v_add_f64 v[30:31], v[30:31], -v[42:43]
	v_add_f64 v[32:33], v[32:33], -v[44:45]
	v_add_f64 v[44:45], v[14:15], v[38:39]
	v_add_f64 v[42:43], v[16:17], v[40:41]
	v_add_f64 v[14:15], v[14:15], -v[38:39]
	;; [unrolled: 4-line block ×4, first 2 shown]
	v_add_f64 v[12:13], v[12:13], -v[24:25]
	v_fma_f64 v[22:23], s[0:1], v[58:59], v[60:61]
	v_fma_f64 v[24:25], v[58:59], s[0:1], -v[60:61]
	v_mul_f64 v[60:61], v[48:49], s[24:25]
	s_mov_b32 s9, 0x3fda9628
	s_mov_b32 s11, 0xbfc2375f
	v_mul_f64 v[66:67], v[48:49], s[18:19]
	s_mov_b32 s15, 0xbfe4f49e
	v_mul_f64 v[70:71], v[48:49], s[20:21]
	v_mul_f64 v[48:49], v[48:49], s[22:23]
	s_mov_b32 s17, 0xbfeeb42a
	v_fma_f64 v[64:65], s[8:9], v[58:59], v[60:61]
	v_fma_f64 v[60:61], v[58:59], s[8:9], -v[60:61]
	v_fma_f64 v[68:69], s[10:11], v[58:59], v[66:67]
	v_fma_f64 v[66:67], v[58:59], s[10:11], -v[66:67]
	;; [unrolled: 2-line block ×4, first 2 shown]
	v_mul_f64 v[58:59], v[46:47], s[6:7]
	v_fma_f64 v[76:77], v[56:57], s[0:1], -v[58:59]
	v_mul_f64 v[78:79], v[46:47], s[24:25]
	v_mul_f64 v[82:83], v[46:47], s[18:19]
	;; [unrolled: 1-line block ×4, first 2 shown]
	v_fmac_f64_e32 v[58:59], s[0:1], v[56:57]
	v_fma_f64 v[80:81], v[56:57], s[8:9], -v[78:79]
	v_fmac_f64_e32 v[78:79], s[8:9], v[56:57]
	v_fma_f64 v[84:85], v[56:57], s[10:11], -v[82:83]
	;; [unrolled: 2-line block ×4, first 2 shown]
	v_fmac_f64_e32 v[46:47], s[16:17], v[56:57]
	v_add_f64 v[22:23], v[2:3], v[22:23]
	v_add_f64 v[56:57], v[4:5], v[76:77]
	;; [unrolled: 1-line block ×11, first 2 shown]
	v_mul_f64 v[2:3], v[32:33], s[24:25]
	v_add_f64 v[58:59], v[4:5], v[58:59]
	v_add_f64 v[80:81], v[4:5], v[80:81]
	;; [unrolled: 1-line block ×9, first 2 shown]
	v_fma_f64 v[4:5], s[8:9], v[36:37], v[2:3]
	v_mul_f64 v[66:67], v[30:31], s[24:25]
	v_add_f64 v[4:5], v[4:5], v[22:23]
	v_fma_f64 v[22:23], v[34:35], s[8:9], -v[66:67]
	v_add_f64 v[22:23], v[22:23], v[56:57]
	v_mul_f64 v[56:57], v[16:17], s[18:19]
	v_fma_f64 v[24:25], s[10:11], v[44:45], v[56:57]
	v_mul_f64 v[70:71], v[14:15], s[18:19]
	v_add_f64 v[4:5], v[24:25], v[4:5]
	v_fma_f64 v[24:25], v[42:43], s[10:11], -v[70:71]
	v_mul_f64 v[72:73], v[20:21], s[20:21]
	v_add_f64 v[22:23], v[24:25], v[22:23]
	v_fma_f64 v[24:25], s[14:15], v[40:41], v[72:73]
	v_mul_f64 v[74:75], v[18:19], s[20:21]
	v_add_f64 v[4:5], v[24:25], v[4:5]
	v_fma_f64 v[24:25], v[38:39], s[14:15], -v[74:75]
	v_mul_f64 v[100:101], v[12:13], s[22:23]
	v_fma_f64 v[2:3], v[36:37], s[8:9], -v[2:3]
	v_fmac_f64_e32 v[66:67], s[8:9], v[34:35]
	v_add_f64 v[24:25], v[24:25], v[22:23]
	v_fma_f64 v[22:23], s[16:17], v[28:29], v[100:101]
	v_add_f64 v[2:3], v[2:3], v[76:77]
	v_add_f64 v[58:59], v[66:67], v[58:59]
	v_fma_f64 v[56:57], v[44:45], s[10:11], -v[56:57]
	v_fmac_f64_e32 v[70:71], s[10:11], v[42:43]
	v_add_f64 v[22:23], v[22:23], v[4:5]
	v_mul_f64 v[4:5], v[10:11], s[22:23]
	v_add_f64 v[2:3], v[56:57], v[2:3]
	v_add_f64 v[56:57], v[70:71], v[58:59]
	v_fmac_f64_e32 v[74:75], s[14:15], v[38:39]
	v_fma_f64 v[102:103], v[26:27], s[16:17], -v[4:5]
	v_add_f64 v[56:57], v[74:75], v[56:57]
	v_fmac_f64_e32 v[4:5], s[16:17], v[26:27]
	v_mul_f64 v[66:67], v[32:33], s[20:21]
	s_mov_b32 s35, 0x3fd207e7
	s_mov_b32 s34, s22
	v_fma_f64 v[58:59], v[40:41], s[14:15], -v[72:73]
	v_add_f64 v[4:5], v[4:5], v[56:57]
	v_fma_f64 v[56:57], s[14:15], v[36:37], v[66:67]
	v_mul_f64 v[70:71], v[16:17], s[34:35]
	v_add_f64 v[2:3], v[58:59], v[2:3]
	v_fma_f64 v[58:59], v[28:29], s[16:17], -v[100:101]
	v_add_f64 v[56:57], v[56:57], v[64:65]
	v_mul_f64 v[64:65], v[30:31], s[20:21]
	v_fma_f64 v[72:73], s[16:17], v[44:45], v[70:71]
	v_add_f64 v[2:3], v[58:59], v[2:3]
	v_fma_f64 v[58:59], v[34:35], s[14:15], -v[64:65]
	v_add_f64 v[56:57], v[72:73], v[56:57]
	v_mul_f64 v[72:73], v[14:15], s[34:35]
	v_add_f64 v[58:59], v[58:59], v[80:81]
	v_fma_f64 v[74:75], v[42:43], s[16:17], -v[72:73]
	s_mov_b32 s29, 0x3fefac9e
	s_mov_b32 s28, s18
	v_add_f64 v[58:59], v[74:75], v[58:59]
	v_mul_f64 v[74:75], v[20:21], s[28:29]
	v_fma_f64 v[76:77], s[10:11], v[40:41], v[74:75]
	v_add_f64 v[56:57], v[76:77], v[56:57]
	v_mul_f64 v[76:77], v[18:19], s[28:29]
	v_fma_f64 v[66:67], v[36:37], s[14:15], -v[66:67]
	v_fmac_f64_e32 v[64:65], s[14:15], v[34:35]
	v_fma_f64 v[80:81], v[38:39], s[10:11], -v[76:77]
	s_mov_b32 s27, 0x3fe14ced
	s_mov_b32 s26, s6
	v_add_f64 v[60:61], v[66:67], v[60:61]
	v_add_f64 v[64:65], v[64:65], v[78:79]
	v_fma_f64 v[66:67], v[44:45], s[16:17], -v[70:71]
	v_fmac_f64_e32 v[72:73], s[16:17], v[42:43]
	v_add_f64 v[58:59], v[80:81], v[58:59]
	v_mul_f64 v[80:81], v[12:13], s[26:27]
	v_add_f64 v[60:61], v[66:67], v[60:61]
	v_add_f64 v[64:65], v[72:73], v[64:65]
	v_fma_f64 v[66:67], v[40:41], s[10:11], -v[74:75]
	v_fmac_f64_e32 v[76:77], s[10:11], v[38:39]
	v_add_f64 v[60:61], v[66:67], v[60:61]
	v_add_f64 v[66:67], v[76:77], v[64:65]
	v_fma_f64 v[64:65], v[28:29], s[0:1], -v[80:81]
	v_add_f64 v[64:65], v[64:65], v[60:61]
	v_mul_f64 v[60:61], v[32:33], s[34:35]
	s_mov_b32 s31, 0x3fed1bb4
	s_mov_b32 s30, s24
	v_fma_f64 v[70:71], s[16:17], v[36:37], v[60:61]
	v_mul_f64 v[74:75], v[16:17], s[30:31]
	v_add_f64 v[68:69], v[70:71], v[68:69]
	v_mul_f64 v[72:73], v[30:31], s[34:35]
	v_fma_f64 v[76:77], s[8:9], v[44:45], v[74:75]
	v_fma_f64 v[70:71], v[34:35], s[16:17], -v[72:73]
	v_add_f64 v[68:69], v[76:77], v[68:69]
	v_mul_f64 v[76:77], v[14:15], s[30:31]
	v_add_f64 v[70:71], v[70:71], v[84:85]
	v_fma_f64 v[78:79], v[42:43], s[8:9], -v[76:77]
	v_add_f64 v[70:71], v[78:79], v[70:71]
	v_mul_f64 v[78:79], v[20:21], s[6:7]
	v_fma_f64 v[100:101], s[0:1], v[28:29], v[80:81]
	v_fma_f64 v[80:81], s[0:1], v[40:41], v[78:79]
	v_add_f64 v[68:69], v[80:81], v[68:69]
	v_mul_f64 v[80:81], v[18:19], s[6:7]
	v_fma_f64 v[60:61], v[36:37], s[16:17], -v[60:61]
	v_fmac_f64_e32 v[72:73], s[16:17], v[34:35]
	v_fma_f64 v[84:85], v[38:39], s[0:1], -v[80:81]
	v_add_f64 v[60:61], v[60:61], v[92:93]
	v_add_f64 v[72:73], v[72:73], v[82:83]
	v_fma_f64 v[74:75], v[44:45], s[8:9], -v[74:75]
	v_fmac_f64_e32 v[76:77], s[8:9], v[42:43]
	v_add_f64 v[70:71], v[84:85], v[70:71]
	v_mul_f64 v[84:85], v[12:13], s[20:21]
	v_add_f64 v[60:61], v[74:75], v[60:61]
	v_add_f64 v[72:73], v[76:77], v[72:73]
	v_fma_f64 v[74:75], v[40:41], s[0:1], -v[78:79]
	v_fmac_f64_e32 v[80:81], s[0:1], v[38:39]
	v_add_f64 v[60:61], v[74:75], v[60:61]
	v_add_f64 v[74:75], v[80:81], v[72:73]
	v_fma_f64 v[72:73], v[28:29], s[14:15], -v[84:85]
	v_add_f64 v[56:57], v[100:101], v[56:57]
	v_mul_f64 v[100:101], v[10:11], s[26:27]
	v_add_f64 v[72:73], v[72:73], v[60:61]
	v_mul_f64 v[60:61], v[32:33], s[28:29]
	v_add_f64 v[24:25], v[102:103], v[24:25]
	v_fma_f64 v[102:103], v[26:27], s[0:1], -v[100:101]
	v_fmac_f64_e32 v[100:101], s[0:1], v[26:27]
	v_fma_f64 v[76:77], s[10:11], v[36:37], v[60:61]
	v_mul_f64 v[82:83], v[16:17], s[6:7]
	v_add_f64 v[66:67], v[100:101], v[66:67]
	v_fma_f64 v[100:101], s[14:15], v[28:29], v[84:85]
	v_add_f64 v[76:77], v[76:77], v[94:95]
	v_mul_f64 v[80:81], v[30:31], s[28:29]
	v_fma_f64 v[84:85], s[0:1], v[44:45], v[82:83]
	v_fma_f64 v[78:79], v[34:35], s[10:11], -v[80:81]
	v_add_f64 v[76:77], v[84:85], v[76:77]
	v_mul_f64 v[84:85], v[14:15], s[6:7]
	v_add_f64 v[78:79], v[78:79], v[88:89]
	v_fma_f64 v[88:89], v[42:43], s[0:1], -v[84:85]
	v_add_f64 v[78:79], v[88:89], v[78:79]
	v_mul_f64 v[88:89], v[20:21], s[22:23]
	v_fma_f64 v[92:93], s[16:17], v[40:41], v[88:89]
	v_fma_f64 v[60:61], v[36:37], s[10:11], -v[60:61]
	v_fmac_f64_e32 v[80:81], s[10:11], v[34:35]
	v_mul_f64 v[32:33], v[32:33], s[26:27]
	v_mul_f64 v[30:31], v[30:31], s[26:27]
	v_add_f64 v[76:77], v[92:93], v[76:77]
	v_mul_f64 v[92:93], v[18:19], s[22:23]
	v_add_f64 v[60:61], v[60:61], v[96:97]
	v_add_f64 v[80:81], v[80:81], v[86:87]
	v_fma_f64 v[86:87], s[0:1], v[36:37], v[32:33]
	v_fma_f64 v[96:97], v[34:35], s[0:1], -v[30:31]
	v_fma_f64 v[32:33], v[36:37], s[0:1], -v[32:33]
	v_fmac_f64_e32 v[30:31], s[0:1], v[34:35]
	v_fmac_f64_e32 v[84:85], s[0:1], v[42:43]
	v_mul_f64 v[16:17], v[16:17], s[20:21]
	v_mul_f64 v[14:15], v[14:15], s[20:21]
	v_fma_f64 v[94:95], v[38:39], s[16:17], -v[92:93]
	v_add_f64 v[32:33], v[32:33], v[48:49]
	v_add_f64 v[30:31], v[30:31], v[46:47]
	v_fma_f64 v[34:35], v[44:45], s[0:1], -v[82:83]
	v_add_f64 v[36:37], v[84:85], v[80:81]
	v_fma_f64 v[46:47], s[14:15], v[44:45], v[16:17]
	v_fma_f64 v[48:49], v[42:43], s[14:15], -v[14:15]
	v_fma_f64 v[16:17], v[44:45], s[14:15], -v[16:17]
	v_fmac_f64_e32 v[14:15], s[14:15], v[42:43]
	v_fmac_f64_e32 v[92:93], s[16:17], v[38:39]
	v_mul_f64 v[18:19], v[18:19], s[30:31]
	v_add_f64 v[68:69], v[100:101], v[68:69]
	v_mul_f64 v[100:101], v[10:11], s[20:21]
	v_add_f64 v[78:79], v[94:95], v[78:79]
	;; [unrolled: 2-line block ×3, first 2 shown]
	v_add_f64 v[16:17], v[16:17], v[32:33]
	v_add_f64 v[14:15], v[14:15], v[30:31]
	v_fma_f64 v[30:31], v[40:41], s[16:17], -v[88:89]
	v_add_f64 v[32:33], v[92:93], v[36:37]
	v_fma_f64 v[36:37], v[38:39], s[8:9], -v[18:19]
	v_fmac_f64_e32 v[18:19], s[8:9], v[38:39]
	v_add_f64 v[58:59], v[102:103], v[58:59]
	v_fma_f64 v[102:103], v[26:27], s[14:15], -v[100:101]
	v_fmac_f64_e32 v[100:101], s[14:15], v[26:27]
	v_add_f64 v[86:87], v[86:87], v[98:99]
	v_add_f64 v[90:91], v[96:97], v[90:91]
	;; [unrolled: 1-line block ×3, first 2 shown]
	v_mul_f64 v[20:21], v[20:21], s[30:31]
	v_add_f64 v[38:39], v[18:19], v[14:15]
	v_fma_f64 v[14:15], v[28:29], s[8:9], -v[94:95]
	v_add_f64 v[74:75], v[100:101], v[74:75]
	v_fma_f64 v[100:101], s[8:9], v[28:29], v[94:95]
	v_add_f64 v[46:47], v[46:47], v[86:87]
	v_add_f64 v[48:49], v[48:49], v[90:91]
	v_fma_f64 v[34:35], s[8:9], v[40:41], v[20:21]
	v_add_f64 v[14:15], v[14:15], v[30:31]
	v_mul_f64 v[30:31], v[10:11], s[18:19]
	s_movk_i32 s33, 0x790
	v_add_f64 v[76:77], v[100:101], v[76:77]
	v_mul_f64 v[100:101], v[10:11], s[30:31]
	v_add_f64 v[34:35], v[34:35], v[46:47]
	v_add_f64 v[36:37], v[36:37], v[48:49]
	v_fma_f64 v[20:21], v[40:41], s[8:9], -v[20:21]
	v_mul_f64 v[12:13], v[12:13], s[18:19]
	v_fma_f64 v[10:11], v[26:27], s[10:11], -v[30:31]
	v_mad_u32_u24 v46, v62, s33, 0
	v_add_f64 v[70:71], v[102:103], v[70:71]
	v_fma_f64 v[102:103], v[26:27], s[8:9], -v[100:101]
	v_add_f64 v[40:41], v[20:21], v[16:17]
	v_fmac_f64_e32 v[100:101], s[8:9], v[26:27]
	v_fma_f64 v[18:19], s[10:11], v[28:29], v[12:13]
	v_add_f64 v[20:21], v[10:11], v[36:37]
	v_fma_f64 v[10:11], v[28:29], s[10:11], -v[12:13]
	v_fmac_f64_e32 v[30:31], s[10:11], v[26:27]
	v_lshl_add_u32 v1, v54, 4, v46
	v_add_f64 v[78:79], v[102:103], v[78:79]
	v_add_f64 v[16:17], v[100:101], v[32:33]
	;; [unrolled: 1-line block ×5, first 2 shown]
	ds_write_b128 v1, v[6:9]
	ds_write_b128 v1, v[22:25] offset:176
	ds_write_b128 v1, v[56:59] offset:352
	;; [unrolled: 1-line block ×10, first 2 shown]
	s_waitcnt lgkmcnt(0)
	s_barrier
	s_and_saveexec_b64 s[40:41], s[38:39]
	s_cbranch_execz .LBB0_38
; %bb.37:
	s_mov_b32 s33, 0x1745d175
	v_mul_hi_u32 v1, v62, s33
	v_mul_u32_u24_e32 v1, 11, v1
	v_sub_u32_e32 v1, v62, v1
	v_mul_u32_u24_e32 v2, 10, v1
	v_lshlrev_b32_e32 v2, 4, v2
	global_load_dwordx4 v[10:13], v2, s[36:37] offset:64
	global_load_dwordx4 v[6:9], v2, s[36:37] offset:80
	;; [unrolled: 1-line block ×8, first 2 shown]
	global_load_dwordx4 v[34:37], v2, s[36:37]
	global_load_dwordx4 v[38:41], v2, s[36:37] offset:144
	v_mul_i32_i24_e32 v2, 0xfffff920, v62
	v_lshlrev_b32_e32 v3, 4, v54
	v_add3_u32 v46, v46, v2, v3
	ds_read_b128 v[68:71], v46 offset:9680
	ds_read_b128 v[78:81], v46 offset:7744
	;; [unrolled: 1-line block ×8, first 2 shown]
	ds_read_b128 v[2:5], v46
	ds_read_b128 v[106:109], v46 offset:1936
	ds_read_b128 v[110:113], v46 offset:19360
	v_add_u32_e32 v46, 0x6e, v1
	v_mul_lo_u32 v53, v52, -11
	v_mul_lo_u32 v46, v46, v52
	v_lshrrev_b32_e32 v47, 6, v46
	v_and_b32_e32 v48, 31, v46
	v_lshrrev_b32_e32 v49, 1, v46
	v_add_u32_e32 v122, v46, v53
	s_add_i32 s33, 0, 0x5330
	v_and_b32_e32 v46, 0x1f0, v47
	v_lshl_add_u32 v47, v48, 4, 0
	v_and_b32_e32 v48, 0x1f0, v49
	v_lshrrev_b32_e32 v49, 6, v122
	v_add_u32_e32 v123, s33, v48
	v_and_b32_e32 v124, 0x1f0, v49
	v_add_u32_e32 v46, s33, v46
	ds_read_b128 v[114:117], v47 offset:21296
	ds_read_b128 v[118:121], v46 offset:1024
	v_mul_lo_u32 v52, v1, v52
	s_waitcnt vmcnt(9) lgkmcnt(12)
	v_mul_f64 v[46:47], v[70:71], v[12:13]
	s_waitcnt vmcnt(8) lgkmcnt(10)
	v_mul_f64 v[48:49], v[84:85], v[8:9]
	v_mul_f64 v[8:9], v[82:83], v[8:9]
	v_fmac_f64_e32 v[48:49], v[82:83], v[6:7]
	v_fma_f64 v[76:77], v[84:85], v[6:7], -v[8:9]
	ds_read_b128 v[6:9], v123 offset:512
	v_mul_f64 v[12:13], v[68:69], v[12:13]
	s_waitcnt vmcnt(7)
	v_mul_f64 v[56:57], v[80:81], v[20:21]
	s_waitcnt vmcnt(6) lgkmcnt(10)
	v_mul_f64 v[54:55], v[88:89], v[16:17]
	v_mul_f64 v[20:21], v[78:79], v[20:21]
	;; [unrolled: 1-line block ×3, first 2 shown]
	v_fmac_f64_e32 v[46:47], v[68:69], v[10:11]
	v_fma_f64 v[74:75], v[70:71], v[10:11], -v[12:13]
	v_add_u32_e32 v10, s33, v124
	ds_read_b128 v[10:13], v10 offset:1024
	v_fmac_f64_e32 v[56:57], v[78:79], v[18:19]
	v_fma_f64 v[78:79], v[80:81], v[18:19], -v[20:21]
	v_fmac_f64_e32 v[54:55], v[86:87], v[14:15]
	v_fma_f64 v[68:69], v[88:89], v[14:15], -v[16:17]
	s_waitcnt lgkmcnt(1)
	v_mul_f64 v[14:15], v[116:117], v[8:9]
	v_mul_f64 v[20:21], v[114:115], v[8:9]
	v_fma_f64 v[18:19], v[114:115], v[6:7], -v[14:15]
	v_fmac_f64_e32 v[20:21], v[116:117], v[6:7]
	v_lshrrev_b32_e32 v7, 1, v122
	v_and_b32_e32 v6, 31, v122
	v_and_b32_e32 v7, 0x1f0, v7
	v_lshl_add_u32 v6, v6, 4, 0
	v_add_u32_e32 v14, s33, v7
	ds_read_b128 v[6:9], v6 offset:21296
	ds_read_b128 v[14:17], v14 offset:512
	s_waitcnt vmcnt(4)
	v_mul_f64 v[58:59], v[100:101], v[24:25]
	v_mul_f64 v[24:25], v[98:99], v[24:25]
	;; [unrolled: 1-line block ×4, first 2 shown]
	v_fmac_f64_e32 v[58:59], v[98:99], v[22:23]
	v_fma_f64 v[70:71], v[100:101], v[22:23], -v[24:25]
	v_mul_f64 v[22:23], v[20:21], v[120:121]
	v_fma_f64 v[80:81], v[92:93], v[26:27], -v[28:29]
	v_fma_f64 v[88:89], v[118:119], v[18:19], -v[22:23]
	v_mul_f64 v[92:93], v[18:19], v[120:121]
	s_waitcnt lgkmcnt(0)
	v_mul_f64 v[18:19], v[8:9], v[16:17]
	v_fma_f64 v[18:19], v[6:7], v[14:15], -v[18:19]
	v_mul_f64 v[6:7], v[6:7], v[16:17]
	v_fmac_f64_e32 v[6:7], v[8:9], v[14:15]
	v_fmac_f64_e32 v[62:63], v[90:91], v[26:27]
	v_mul_f64 v[8:9], v[6:7], v[12:13]
	v_mul_f64 v[90:91], v[18:19], v[12:13]
	v_fma_f64 v[86:87], v[10:11], v[18:19], -v[8:9]
	v_fmac_f64_e32 v[90:91], v[10:11], v[6:7]
	v_add_u32_e32 v10, v122, v53
	v_lshrrev_b32_e32 v6, 6, v10
	s_waitcnt vmcnt(3)
	v_mul_f64 v[64:65], v[96:97], v[32:33]
	v_mul_f64 v[32:33], v[94:95], v[32:33]
	v_and_b32_e32 v6, 0x1f0, v6
	v_and_b32_e32 v7, 31, v10
	v_fma_f64 v[82:83], v[96:97], v[30:31], -v[32:33]
	v_add_u32_e32 v6, s33, v6
	v_lshl_add_u32 v11, v7, 4, 0
	v_add_u32_e32 v32, v10, v53
	ds_read_b128 v[6:9], v6 offset:1024
	ds_read_b128 v[14:17], v11 offset:21296
	v_lshrrev_b32_e32 v11, 1, v10
	v_lshrrev_b32_e32 v10, 6, v32
	;; [unrolled: 1-line block ×3, first 2 shown]
	v_and_b32_e32 v11, 0x1f0, v11
	v_and_b32_e32 v10, 0x1f0, v10
	;; [unrolled: 1-line block ×4, first 2 shown]
	v_add_u32_e32 v11, s33, v11
	v_add_u32_e32 v10, s33, v10
	v_lshl_add_u32 v22, v22, 4, 0
	v_add_u32_e32 v26, s33, v23
	v_fmac_f64_e32 v[92:93], v[118:119], v[20:21]
	ds_read_b128 v[18:21], v11 offset:512
	ds_read_b128 v[10:13], v10 offset:1024
	ds_read_b128 v[22:25], v22 offset:21296
	ds_read_b128 v[26:29], v26 offset:512
	v_fmac_f64_e32 v[64:65], v[94:95], v[30:31]
	s_waitcnt vmcnt(2)
	v_mul_f64 v[60:61], v[104:105], v[44:45]
	s_waitcnt lgkmcnt(3)
	v_mul_f64 v[30:31], v[16:17], v[20:21]
	v_mul_f64 v[96:97], v[14:15], v[20:21]
	v_fma_f64 v[94:95], v[14:15], v[18:19], -v[30:31]
	v_fmac_f64_e32 v[96:97], v[16:17], v[18:19]
	s_waitcnt lgkmcnt(0)
	v_mul_f64 v[14:15], v[24:25], v[28:29]
	v_add_u32_e32 v18, v32, v53
	v_fma_f64 v[98:99], v[22:23], v[26:27], -v[14:15]
	v_lshrrev_b32_e32 v14, 6, v18
	v_mul_f64 v[72:73], v[102:103], v[44:45]
	s_waitcnt vmcnt(0)
	v_mul_f64 v[44:45], v[112:113], v[40:41]
	v_mul_f64 v[40:41], v[110:111], v[40:41]
	v_and_b32_e32 v14, 0x1f0, v14
	v_and_b32_e32 v15, 31, v18
	v_fmac_f64_e32 v[60:61], v[102:103], v[42:43]
	v_fma_f64 v[42:43], v[104:105], v[42:43], -v[72:73]
	v_fma_f64 v[72:73], v[112:113], v[38:39], -v[40:41]
	v_mul_f64 v[100:101], v[22:23], v[28:29]
	v_add_u32_e32 v14, s33, v14
	v_lshl_add_u32 v19, v15, 4, 0
	v_add_u32_e32 v40, v18, v53
	v_fmac_f64_e32 v[100:101], v[24:25], v[26:27]
	ds_read_b128 v[14:17], v14 offset:1024
	ds_read_b128 v[22:25], v19 offset:21296
	v_lshrrev_b32_e32 v19, 1, v18
	v_lshrrev_b32_e32 v18, 6, v40
	;; [unrolled: 1-line block ×3, first 2 shown]
	v_mul_f64 v[66:67], v[108:109], v[36:37]
	v_mul_f64 v[36:37], v[106:107], v[36:37]
	v_and_b32_e32 v19, 0x1f0, v19
	v_and_b32_e32 v18, 0x1f0, v18
	;; [unrolled: 1-line block ×4, first 2 shown]
	v_fmac_f64_e32 v[66:67], v[106:107], v[34:35]
	v_fma_f64 v[84:85], v[108:109], v[34:35], -v[36:37]
	v_add_u32_e32 v19, s33, v19
	v_add_u32_e32 v18, s33, v18
	v_lshl_add_u32 v30, v30, 4, 0
	v_add_u32_e32 v34, s33, v31
	ds_read_b128 v[26:29], v19 offset:512
	ds_read_b128 v[18:21], v18 offset:1024
	;; [unrolled: 1-line block ×4, first 2 shown]
	v_fmac_f64_e32 v[44:45], v[110:111], v[38:39]
	v_mul_f64 v[140:141], v[94:95], v[8:9]
	s_waitcnt lgkmcnt(3)
	v_mul_f64 v[38:39], v[24:25], v[28:29]
	v_mul_f64 v[104:105], v[22:23], v[28:29]
	v_fma_f64 v[102:103], v[22:23], v[26:27], -v[38:39]
	v_fmac_f64_e32 v[104:105], v[24:25], v[26:27]
	s_waitcnt lgkmcnt(0)
	v_mul_f64 v[22:23], v[32:33], v[36:37]
	v_add_u32_e32 v26, v40, v53
	v_fma_f64 v[106:107], v[30:31], v[34:35], -v[22:23]
	v_lshrrev_b32_e32 v22, 6, v26
	v_and_b32_e32 v22, 0x1f0, v22
	v_and_b32_e32 v23, 31, v26
	v_mul_f64 v[108:109], v[30:31], v[36:37]
	v_add_u32_e32 v22, s33, v22
	v_lshl_add_u32 v27, v23, 4, 0
	v_add_u32_e32 v122, v26, v53
	v_fmac_f64_e32 v[108:109], v[32:33], v[34:35]
	ds_read_b128 v[22:25], v22 offset:1024
	ds_read_b128 v[30:33], v27 offset:21296
	v_lshrrev_b32_e32 v27, 1, v26
	v_lshrrev_b32_e32 v26, 6, v122
	v_and_b32_e32 v27, 0x1f0, v27
	v_and_b32_e32 v26, 0x1f0, v26
	;; [unrolled: 1-line block ×3, first 2 shown]
	v_lshrrev_b32_e32 v39, 1, v122
	v_add_u32_e32 v27, s33, v27
	v_add_u32_e32 v26, s33, v26
	v_lshl_add_u32 v38, v38, 4, 0
	v_and_b32_e32 v39, 0x1f0, v39
	ds_read_b128 v[34:37], v27 offset:512
	ds_read_b128 v[26:29], v26 offset:1024
	v_add_u32_e32 v110, s33, v39
	ds_read_b128 v[38:41], v38 offset:21296
	ds_read_b128 v[118:121], v110 offset:512
	v_fmac_f64_e32 v[140:141], v[6:7], v[96:97]
	s_waitcnt lgkmcnt(3)
	v_mul_f64 v[110:111], v[32:33], v[36:37]
	v_fma_f64 v[110:111], v[30:31], v[34:35], -v[110:111]
	v_mul_f64 v[112:113], v[30:31], v[36:37]
	s_waitcnt lgkmcnt(0)
	v_mul_f64 v[30:31], v[40:41], v[120:121]
	v_fma_f64 v[114:115], v[38:39], v[118:119], -v[30:31]
	v_add_u32_e32 v30, v122, v53
	v_fmac_f64_e32 v[112:113], v[32:33], v[34:35]
	v_lshrrev_b32_e32 v32, 1, v30
	v_and_b32_e32 v31, 31, v30
	v_and_b32_e32 v32, 0x1f0, v32
	v_lshrrev_b32_e32 v33, 6, v30
	v_mul_f64 v[116:117], v[38:39], v[120:121]
	v_lshl_add_u32 v31, v31, 4, 0
	v_add_u32_e32 v32, s33, v32
	v_and_b32_e32 v33, 0x1f0, v33
	v_fmac_f64_e32 v[116:117], v[40:41], v[118:119]
	v_add_u32_e32 v33, s33, v33
	ds_read_b128 v[38:41], v31 offset:21296
	ds_read_b128 v[34:37], v33 offset:1024
	;; [unrolled: 1-line block ×3, first 2 shown]
	v_mul_f64 v[162:163], v[110:111], v[24:25]
	v_fmac_f64_e32 v[162:163], v[22:23], v[112:113]
	v_mul_f64 v[164:165], v[114:115], v[28:29]
	v_add_f64 v[158:159], v[64:65], -v[60:61]
	s_waitcnt lgkmcnt(0)
	v_mul_f64 v[122:123], v[40:41], v[120:121]
	v_fma_f64 v[130:131], v[38:39], v[118:119], -v[122:123]
	v_mul_f64 v[38:39], v[38:39], v[120:121]
	v_fmac_f64_e32 v[38:39], v[40:41], v[118:119]
	v_mul_f64 v[40:41], v[96:97], v[8:9]
	v_fma_f64 v[138:139], v[6:7], v[94:95], -v[40:41]
	v_mul_f64 v[6:7], v[100:101], v[12:13]
	v_fma_f64 v[144:145], v[10:11], v[98:99], -v[6:7]
	;; [unrolled: 2-line block ×5, first 2 shown]
	v_mul_f64 v[6:7], v[116:117], v[28:29]
	v_add_f64 v[22:23], v[66:67], -v[44:45]
	v_fma_f64 v[134:135], v[26:27], v[114:115], -v[6:7]
	v_fmac_f64_e32 v[164:165], v[26:27], v[116:117]
	v_mul_f64 v[8:9], v[38:39], v[36:37]
	v_mul_f64 v[114:115], v[22:23], s[6:7]
	v_add_f64 v[116:117], v[84:85], v[72:73]
	v_add_f64 v[152:153], v[62:63], -v[58:59]
	v_mul_f64 v[156:157], v[106:107], v[20:21]
	v_mul_f64 v[112:113], v[158:159], s[24:25]
	v_add_f64 v[126:127], v[82:83], v[42:43]
	v_fma_f64 v[128:129], v[34:35], v[130:131], -v[8:9]
	v_fma_f64 v[8:9], s[0:1], v[116:117], v[114:115]
	v_add_f64 v[142:143], v[56:57], -v[54:55]
	v_mul_f64 v[124:125], v[152:153], s[18:19]
	v_fmac_f64_e32 v[156:157], v[18:19], v[108:109]
	v_add_f64 v[108:109], v[80:81], v[70:71]
	v_fma_f64 v[6:7], s[8:9], v[126:127], v[112:113]
	v_add_f64 v[8:9], v[4:5], v[8:9]
	v_add_f64 v[136:137], v[46:47], -v[48:49]
	v_mul_f64 v[120:121], v[142:143], s[20:21]
	v_add_f64 v[122:123], v[78:79], v[68:69]
	v_add_f64 v[6:7], v[6:7], v[8:9]
	v_fma_f64 v[8:9], s[10:11], v[108:109], v[124:125]
	v_mul_f64 v[118:119], v[136:137], s[22:23]
	v_mul_f64 v[130:131], v[130:131], v[36:37]
	v_add_f64 v[6:7], v[8:9], v[6:7]
	v_fma_f64 v[8:9], s[14:15], v[122:123], v[120:121]
	v_add_f64 v[132:133], v[74:75], v[76:77]
	v_add_f64 v[24:25], v[84:85], -v[72:73]
	v_fmac_f64_e32 v[130:131], v[34:35], v[38:39]
	v_add_f64 v[6:7], v[8:9], v[6:7]
	v_fma_f64 v[8:9], s[16:17], v[132:133], v[118:119]
	v_add_f64 v[38:39], v[66:67], v[44:45]
	v_mul_f64 v[40:41], v[24:25], s[6:7]
	v_add_f64 v[26:27], v[82:83], -v[42:43]
	v_mul_f64 v[146:147], v[98:99], v[12:13]
	v_add_f64 v[6:7], v[8:9], v[6:7]
	v_fma_f64 v[8:9], v[38:39], s[0:1], -v[40:41]
	v_add_f64 v[96:97], v[64:65], v[60:61]
	v_mul_f64 v[94:95], v[26:27], s[24:25]
	v_add_f64 v[28:29], v[80:81], -v[70:71]
	v_fmac_f64_e32 v[146:147], v[10:11], v[100:101]
	v_mul_f64 v[150:151], v[102:103], v[16:17]
	v_add_f64 v[8:9], v[2:3], v[8:9]
	v_fma_f64 v[10:11], v[96:97], s[8:9], -v[94:95]
	v_add_f64 v[102:103], v[62:63], v[58:59]
	v_mul_f64 v[98:99], v[28:29], s[18:19]
	v_add_f64 v[34:35], v[78:79], -v[68:69]
	v_add_f64 v[8:9], v[10:11], v[8:9]
	v_fma_f64 v[10:11], v[102:103], s[10:11], -v[98:99]
	v_add_f64 v[106:107], v[56:57], v[54:55]
	v_mul_f64 v[100:101], v[34:35], s[20:21]
	v_add_f64 v[36:37], v[74:75], -v[76:77]
	v_fmac_f64_e32 v[150:151], v[14:15], v[104:105]
	v_add_f64 v[8:9], v[10:11], v[8:9]
	v_fma_f64 v[10:11], v[106:107], s[14:15], -v[100:101]
	v_add_f64 v[110:111], v[46:47], v[48:49]
	v_mul_f64 v[104:105], v[36:37], s[22:23]
	v_add_f64 v[8:9], v[10:11], v[8:9]
	v_fma_f64 v[10:11], v[110:111], s[16:17], -v[104:105]
	v_add_f64 v[10:11], v[10:11], v[8:9]
	v_mul_f64 v[8:9], v[10:11], v[92:93]
	v_fma_f64 v[8:9], v[6:7], v[88:89], -v[8:9]
	v_mul_f64 v[6:7], v[6:7], v[92:93]
	v_mul_f64 v[92:93], v[22:23], s[24:25]
	v_fmac_f64_e32 v[6:7], v[10:11], v[88:89]
	v_fma_f64 v[10:11], s[8:9], v[116:117], v[92:93]
	v_mul_f64 v[166:167], v[158:159], s[20:21]
	v_add_f64 v[10:11], v[4:5], v[10:11]
	v_fma_f64 v[12:13], s[14:15], v[126:127], v[166:167]
	v_mul_f64 v[168:169], v[152:153], s[34:35]
	v_add_f64 v[10:11], v[12:13], v[10:11]
	;; [unrolled: 3-line block ×5, first 2 shown]
	v_fma_f64 v[12:13], v[38:39], s[8:9], -v[174:175]
	v_mul_f64 v[176:177], v[26:27], s[20:21]
	v_add_f64 v[12:13], v[2:3], v[12:13]
	v_fma_f64 v[14:15], v[96:97], s[14:15], -v[176:177]
	v_mul_f64 v[178:179], v[28:29], s[34:35]
	v_add_f64 v[12:13], v[14:15], v[12:13]
	;; [unrolled: 3-line block ×4, first 2 shown]
	v_fma_f64 v[14:15], v[110:111], s[0:1], -v[182:183]
	v_add_f64 v[14:15], v[14:15], v[12:13]
	v_mul_f64 v[12:13], v[14:15], v[90:91]
	v_fma_f64 v[12:13], v[10:11], v[86:87], -v[12:13]
	v_mul_f64 v[10:11], v[10:11], v[90:91]
	v_fmac_f64_e32 v[10:11], v[14:15], v[86:87]
	v_mul_f64 v[86:87], v[22:23], s[18:19]
	v_fma_f64 v[14:15], s[10:11], v[116:117], v[86:87]
	v_mul_f64 v[88:89], v[158:159], s[34:35]
	v_add_f64 v[14:15], v[4:5], v[14:15]
	v_fma_f64 v[16:17], s[16:17], v[126:127], v[88:89]
	v_mul_f64 v[90:91], v[152:153], s[30:31]
	v_add_f64 v[14:15], v[16:17], v[14:15]
	;; [unrolled: 3-line block ×5, first 2 shown]
	v_fma_f64 v[16:17], v[38:39], s[10:11], -v[188:189]
	v_mul_f64 v[190:191], v[26:27], s[34:35]
	v_add_f64 v[16:17], v[2:3], v[16:17]
	v_fma_f64 v[18:19], v[96:97], s[16:17], -v[190:191]
	v_mul_f64 v[192:193], v[28:29], s[30:31]
	v_add_f64 v[16:17], v[18:19], v[16:17]
	;; [unrolled: 3-line block ×4, first 2 shown]
	v_fma_f64 v[18:19], v[110:111], s[14:15], -v[196:197]
	v_add_f64 v[18:19], v[18:19], v[16:17]
	v_mul_f64 v[16:17], v[18:19], v[140:141]
	v_fma_f64 v[16:17], v[14:15], v[138:139], -v[16:17]
	v_mul_f64 v[14:15], v[14:15], v[140:141]
	v_fmac_f64_e32 v[14:15], v[18:19], v[138:139]
	v_mul_f64 v[138:139], v[22:23], s[20:21]
	v_fma_f64 v[18:19], s[14:15], v[116:117], v[138:139]
	v_mul_f64 v[140:141], v[158:159], s[28:29]
	v_add_f64 v[18:19], v[4:5], v[18:19]
	v_fma_f64 v[20:21], s[10:11], v[126:127], v[140:141]
	v_mul_f64 v[198:199], v[152:153], s[6:7]
	v_add_f64 v[18:19], v[20:21], v[18:19]
	v_fma_f64 v[20:21], s[0:1], v[108:109], v[198:199]
	v_mul_f64 v[200:201], v[142:143], s[22:23]
	v_add_f64 v[18:19], v[20:21], v[18:19]
	v_fma_f64 v[20:21], s[16:17], v[122:123], v[200:201]
	v_mul_f64 v[202:203], v[136:137], s[30:31]
	v_add_f64 v[18:19], v[20:21], v[18:19]
	v_fma_f64 v[20:21], s[8:9], v[132:133], v[202:203]
	v_mul_f64 v[204:205], v[24:25], s[20:21]
	v_add_f64 v[18:19], v[20:21], v[18:19]
	v_fma_f64 v[20:21], v[38:39], s[14:15], -v[204:205]
	v_mul_f64 v[206:207], v[26:27], s[28:29]
	v_add_f64 v[20:21], v[2:3], v[20:21]
	v_fma_f64 v[208:209], v[96:97], s[10:11], -v[206:207]
	v_add_f64 v[20:21], v[208:209], v[20:21]
	v_mul_f64 v[208:209], v[28:29], s[6:7]
	v_fma_f64 v[210:211], v[102:103], s[0:1], -v[208:209]
	v_add_f64 v[20:21], v[210:211], v[20:21]
	v_mul_f64 v[210:211], v[34:35], s[22:23]
	;; [unrolled: 3-line block ×3, first 2 shown]
	v_fma_f64 v[214:215], v[110:111], s[8:9], -v[212:213]
	v_fma_f64 v[86:87], v[116:117], s[10:11], -v[86:87]
	v_add_f64 v[214:215], v[214:215], v[20:21]
	v_fma_f64 v[88:89], v[126:127], s[16:17], -v[88:89]
	v_add_f64 v[86:87], v[4:5], v[86:87]
	v_mul_f64 v[20:21], v[214:215], v[146:147]
	v_add_f64 v[86:87], v[88:89], v[86:87]
	v_fma_f64 v[88:89], v[108:109], s[8:9], -v[90:91]
	v_fma_f64 v[20:21], v[18:19], v[144:145], -v[20:21]
	v_mul_f64 v[18:19], v[18:19], v[146:147]
	v_mul_f64 v[146:147], v[22:23], s[22:23]
	v_add_f64 v[86:87], v[88:89], v[86:87]
	v_fma_f64 v[88:89], v[122:123], s[0:1], -v[184:185]
	v_fmac_f64_e32 v[18:19], v[214:215], v[144:145]
	v_mul_f64 v[144:145], v[158:159], s[26:27]
	v_fma_f64 v[22:23], s[16:17], v[116:117], v[146:147]
	v_add_f64 v[86:87], v[88:89], v[86:87]
	v_fma_f64 v[88:89], v[132:133], s[14:15], -v[186:187]
	v_fmac_f64_e32 v[188:189], s[10:11], v[38:39]
	v_add_f64 v[22:23], v[4:5], v[22:23]
	v_fma_f64 v[158:159], s[0:1], v[126:127], v[144:145]
	v_mul_f64 v[152:153], v[152:153], s[20:21]
	v_add_f64 v[86:87], v[88:89], v[86:87]
	v_fmac_f64_e32 v[190:191], s[16:17], v[96:97]
	v_add_f64 v[88:89], v[2:3], v[188:189]
	v_add_f64 v[22:23], v[158:159], v[22:23]
	v_fma_f64 v[158:159], s[14:15], v[108:109], v[152:153]
	v_mul_f64 v[142:143], v[142:143], s[30:31]
	v_fma_f64 v[146:147], v[116:117], s[16:17], -v[146:147]
	v_add_f64 v[88:89], v[190:191], v[88:89]
	v_fmac_f64_e32 v[192:193], s[8:9], v[102:103]
	v_add_f64 v[22:23], v[158:159], v[22:23]
	v_fma_f64 v[158:159], s[8:9], v[122:123], v[142:143]
	v_mul_f64 v[136:137], v[136:137], s[18:19]
	v_fma_f64 v[144:145], v[126:127], s[0:1], -v[144:145]
	v_add_f64 v[146:147], v[4:5], v[146:147]
	v_add_f64 v[88:89], v[192:193], v[88:89]
	v_fmac_f64_e32 v[194:195], s[0:1], v[106:107]
	v_add_f64 v[22:23], v[158:159], v[22:23]
	v_fma_f64 v[158:159], s[10:11], v[132:133], v[136:137]
	v_add_f64 v[144:145], v[144:145], v[146:147]
	v_fma_f64 v[146:147], v[108:109], s[14:15], -v[152:153]
	v_add_f64 v[88:89], v[194:195], v[88:89]
	v_fmac_f64_e32 v[196:197], s[14:15], v[110:111]
	v_add_f64 v[22:23], v[158:159], v[22:23]
	v_mul_f64 v[158:159], v[24:25], s[22:23]
	v_add_f64 v[144:145], v[146:147], v[144:145]
	v_fma_f64 v[142:143], v[122:123], s[8:9], -v[142:143]
	v_add_f64 v[90:91], v[196:197], v[88:89]
	v_mul_f64 v[26:27], v[26:27], s[26:27]
	v_fma_f64 v[24:25], v[38:39], s[16:17], -v[158:159]
	v_add_f64 v[142:143], v[142:143], v[144:145]
	v_fma_f64 v[136:137], v[132:133], s[10:11], -v[136:137]
	v_fmac_f64_e32 v[158:159], s[16:17], v[38:39]
	v_mul_f64 v[88:89], v[90:91], v[164:165]
	v_add_f64 v[24:25], v[2:3], v[24:25]
	v_fma_f64 v[214:215], v[96:97], s[0:1], -v[26:27]
	v_mul_f64 v[28:29], v[28:29], s[20:21]
	v_add_f64 v[136:137], v[136:137], v[142:143]
	v_fmac_f64_e32 v[26:27], s[0:1], v[96:97]
	v_add_f64 v[142:143], v[2:3], v[158:159]
	v_fma_f64 v[88:89], v[86:87], v[134:135], -v[88:89]
	v_mul_f64 v[86:87], v[86:87], v[164:165]
	v_fma_f64 v[92:93], v[116:117], s[8:9], -v[92:93]
	v_add_f64 v[24:25], v[214:215], v[24:25]
	v_fma_f64 v[214:215], v[102:103], s[14:15], -v[28:29]
	v_mul_f64 v[34:35], v[34:35], s[30:31]
	v_add_f64 v[26:27], v[26:27], v[142:143]
	v_fmac_f64_e32 v[28:29], s[14:15], v[102:103]
	v_fmac_f64_e32 v[86:87], v[90:91], v[134:135]
	v_fma_f64 v[90:91], v[126:127], s[14:15], -v[166:167]
	v_add_f64 v[92:93], v[4:5], v[92:93]
	v_add_f64 v[24:25], v[214:215], v[24:25]
	v_fma_f64 v[214:215], v[106:107], s[8:9], -v[34:35]
	v_mul_f64 v[36:37], v[36:37], s[18:19]
	v_add_f64 v[26:27], v[28:29], v[26:27]
	v_fmac_f64_e32 v[34:35], s[8:9], v[106:107]
	v_add_f64 v[90:91], v[90:91], v[92:93]
	v_fma_f64 v[92:93], v[108:109], s[16:17], -v[168:169]
	v_add_f64 v[24:25], v[214:215], v[24:25]
	v_fma_f64 v[214:215], v[110:111], s[10:11], -v[36:37]
	v_add_f64 v[26:27], v[34:35], v[26:27]
	v_fmac_f64_e32 v[36:37], s[10:11], v[110:111]
	v_add_f64 v[90:91], v[92:93], v[90:91]
	v_fma_f64 v[92:93], v[122:123], s[10:11], -v[170:171]
	v_add_f64 v[34:35], v[36:37], v[26:27]
	v_add_f64 v[90:91], v[92:93], v[90:91]
	v_fma_f64 v[92:93], v[132:133], s[0:1], -v[172:173]
	v_fmac_f64_e32 v[174:175], s[8:9], v[38:39]
	v_mul_f64 v[26:27], v[34:35], v[156:157]
	v_add_f64 v[90:91], v[92:93], v[90:91]
	v_fmac_f64_e32 v[176:177], s[14:15], v[96:97]
	v_add_f64 v[92:93], v[2:3], v[174:175]
	v_fma_f64 v[28:29], v[136:137], v[154:155], -v[26:27]
	v_mul_f64 v[26:27], v[136:137], v[156:157]
	v_fma_f64 v[36:37], v[116:117], s[14:15], -v[138:139]
	v_add_f64 v[92:93], v[176:177], v[92:93]
	v_fmac_f64_e32 v[178:179], s[16:17], v[102:103]
	v_fmac_f64_e32 v[26:27], v[34:35], v[154:155]
	v_fma_f64 v[34:35], v[126:127], s[10:11], -v[140:141]
	v_add_f64 v[36:37], v[4:5], v[36:37]
	v_add_f64 v[92:93], v[178:179], v[92:93]
	v_fmac_f64_e32 v[180:181], s[10:11], v[106:107]
	v_add_u32_e32 v53, v30, v53
	v_add_f64 v[34:35], v[34:35], v[36:37]
	v_fma_f64 v[36:37], v[108:109], s[0:1], -v[198:199]
	v_add_f64 v[92:93], v[180:181], v[92:93]
	v_fmac_f64_e32 v[182:183], s[0:1], v[110:111]
	v_lshrrev_b32_e32 v30, 6, v53
	v_add_f64 v[34:35], v[36:37], v[34:35]
	v_fma_f64 v[36:37], v[122:123], s[16:17], -v[200:201]
	v_add_f64 v[134:135], v[182:183], v[92:93]
	v_fma_f64 v[120:121], v[122:123], s[14:15], -v[120:121]
	v_fma_f64 v[122:123], v[126:127], s[8:9], -v[112:113]
	;; [unrolled: 1-line block ×3, first 2 shown]
	v_and_b32_e32 v30, 0x1f0, v30
	v_mul_f64 v[92:93], v[134:135], v[130:131]
	v_fma_f64 v[108:109], v[108:109], s[10:11], -v[124:125]
	v_add_f64 v[124:125], v[4:5], v[112:113]
	v_and_b32_e32 v112, 31, v53
	v_lshrrev_b32_e32 v53, 1, v53
	v_add_u32_e32 v30, s33, v30
	v_fma_f64 v[92:93], v[90:91], v[128:129], -v[92:93]
	v_mul_f64 v[90:91], v[90:91], v[130:131]
	v_lshl_add_u32 v112, v112, 4, 0
	v_and_b32_e32 v53, 0x1f0, v53
	ds_read_b128 v[30:33], v30 offset:1024
	v_fmac_f64_e32 v[90:91], v[134:135], v[128:129]
	v_fma_f64 v[128:129], v[132:133], s[16:17], -v[118:119]
	v_add_u32_e32 v53, s33, v53
	ds_read_b128 v[112:115], v112 offset:21296
	ds_read_b128 v[116:119], v53 offset:512
	v_add_f64 v[122:123], v[122:123], v[124:125]
	v_fmac_f64_e32 v[40:41], s[0:1], v[38:39]
	v_fmac_f64_e32 v[204:205], s[14:15], v[38:39]
	v_add_f64 v[108:109], v[108:109], v[122:123]
	v_fmac_f64_e32 v[94:95], s[8:9], v[96:97]
	v_add_f64 v[38:39], v[2:3], v[40:41]
	v_add_f64 v[108:109], v[120:121], v[108:109]
	s_waitcnt lgkmcnt(0)
	v_mul_f64 v[120:121], v[114:115], v[118:119]
	v_fmac_f64_e32 v[98:99], s[10:11], v[102:103]
	v_add_f64 v[38:39], v[94:95], v[38:39]
	v_fma_f64 v[120:121], v[112:113], v[116:117], -v[120:121]
	v_mul_f64 v[112:113], v[112:113], v[118:119]
	v_fmac_f64_e32 v[100:101], s[14:15], v[106:107]
	v_add_f64 v[38:39], v[98:99], v[38:39]
	v_fmac_f64_e32 v[112:113], v[114:115], v[116:117]
	v_fmac_f64_e32 v[104:105], s[16:17], v[110:111]
	v_add_f64 v[38:39], v[100:101], v[38:39]
	v_mul_f64 v[40:41], v[120:121], v[32:33]
	v_mul_f64 v[114:115], v[112:113], v[32:33]
	v_add_f64 v[38:39], v[104:105], v[38:39]
	v_fmac_f64_e32 v[40:41], v[30:31], v[112:113]
	v_add_f64 v[108:109], v[128:129], v[108:109]
	v_fma_f64 v[114:115], v[30:31], v[120:121], -v[114:115]
	v_mul_f64 v[30:31], v[38:39], v[40:41]
	v_add_f64 v[4:5], v[4:5], v[84:85]
	v_fma_f64 v[32:33], v[108:109], v[114:115], -v[30:31]
	v_mul_f64 v[30:31], v[108:109], v[40:41]
	v_add_f64 v[4:5], v[4:5], v[82:83]
	v_add_f64 v[34:35], v[36:37], v[34:35]
	v_fma_f64 v[36:37], v[132:133], s[8:9], -v[202:203]
	v_fmac_f64_e32 v[30:31], v[38:39], v[114:115]
	v_add_f64 v[4:5], v[4:5], v[80:81]
	v_lshrrev_b32_e32 v38, 6, v52
	v_and_b32_e32 v39, 31, v52
	v_lshrrev_b32_e32 v52, 1, v52
	v_add_f64 v[34:35], v[36:37], v[34:35]
	v_add_f64 v[36:37], v[2:3], v[204:205]
	;; [unrolled: 1-line block ×3, first 2 shown]
	v_and_b32_e32 v38, 0x1f0, v38
	v_and_b32_e32 v52, 0x1f0, v52
	v_add_f64 v[2:3], v[2:3], v[66:67]
	v_add_f64 v[4:5], v[4:5], v[74:75]
	v_add_u32_e32 v38, s33, v38
	v_add_u32_e32 v52, s33, v52
	v_add_f64 v[2:3], v[2:3], v[64:65]
	v_add_f64 v[4:5], v[4:5], v[76:77]
	v_lshl_add_u32 v53, v39, 4, 0
	ds_read_b128 v[38:41], v38 offset:1024
	ds_read_b128 v[74:77], v53 offset:21296
	;; [unrolled: 1-line block ×3, first 2 shown]
	v_add_f64 v[2:3], v[2:3], v[62:63]
	v_add_f64 v[2:3], v[2:3], v[56:57]
	;; [unrolled: 1-line block ×8, first 2 shown]
	v_fmac_f64_e32 v[208:209], s[0:1], v[102:103]
	v_add_f64 v[42:43], v[4:5], v[72:73]
	s_waitcnt lgkmcnt(0)
	v_mul_f64 v[4:5], v[76:77], v[80:81]
	v_mul_f64 v[52:53], v[74:75], v[80:81]
	v_add_f64 v[2:3], v[2:3], v[58:59]
	s_mov_b32 s0, 0x21d9eae
	v_fma_f64 v[4:5], v[74:75], v[78:79], -v[4:5]
	v_fmac_f64_e32 v[52:53], v[76:77], v[78:79]
	v_add_f64 v[2:3], v[2:3], v[60:61]
	v_mul_hi_u32 v0, v0, s0
	s_movk_i32 s0, 0x79
	v_mul_f64 v[68:69], v[52:53], v[40:41]
	v_add_f64 v[44:45], v[2:3], v[44:45]
	v_mul_f64 v[2:3], v[4:5], v[40:41]
	v_mad_u32_u24 v40, v0, s0, v1
	v_mad_u64_u32 v[0:1], s[0:1], s12, v40, 0
	v_fma_f64 v[68:69], v[38:39], v[4:5], -v[68:69]
	v_fmac_f64_e32 v[2:3], v[38:39], v[52:53]
	v_mov_b32_e32 v38, v1
	v_mad_u64_u32 v[38:39], s[0:1], s13, v40, v[38:39]
	s_lshl_b64 s[0:1], s[2:3], 4
	s_add_u32 s0, s4, s0
	s_addc_u32 s1, s5, s1
	v_mul_f64 v[4:5], v[44:45], v[2:3]
	v_mul_f64 v[2:3], v[42:43], v[2:3]
	v_mov_b32_e32 v1, v38
	v_lshl_add_u64 v[38:39], v[50:51], 4, s[0:1]
	v_fma_f64 v[4:5], v[42:43], v[68:69], -v[4:5]
	v_fmac_f64_e32 v[2:3], v[44:45], v[68:69]
	v_lshl_add_u64 v[0:1], v[0:1], 4, v[38:39]
	global_store_dwordx4 v[0:1], v[2:5], off
	v_fmac_f64_e32 v[206:207], s[10:11], v[96:97]
	v_add_f64 v[36:37], v[206:207], v[36:37]
	v_add_u32_e32 v3, 11, v40
	v_mad_u64_u32 v[0:1], s[0:1], s12, v3, 0
	v_mov_b32_e32 v2, v1
	v_mad_u64_u32 v[2:3], s[0:1], s13, v3, v[2:3]
	v_mov_b32_e32 v1, v2
	v_lshl_add_u64 v[0:1], v[0:1], 4, v[38:39]
	v_add_u32_e32 v3, 22, v40
	global_store_dwordx4 v[0:1], v[30:33], off
	v_mad_u64_u32 v[0:1], s[0:1], s12, v3, 0
	v_mov_b32_e32 v2, v1
	v_mad_u64_u32 v[2:3], s[0:1], s13, v3, v[2:3]
	v_mov_b32_e32 v1, v2
	v_lshl_add_u64 v[0:1], v[0:1], 4, v[38:39]
	v_add_u32_e32 v3, 33, v40
	global_store_dwordx4 v[0:1], v[90:93], off
	v_mad_u64_u32 v[0:1], s[0:1], s12, v3, 0
	v_mov_b32_e32 v2, v1
	v_mad_u64_u32 v[2:3], s[0:1], s13, v3, v[2:3]
	v_mov_b32_e32 v1, v2
	v_add_f64 v[36:37], v[208:209], v[36:37]
	v_fmac_f64_e32 v[210:211], s[16:17], v[106:107]
	v_lshl_add_u64 v[0:1], v[0:1], 4, v[38:39]
	v_add_u32_e32 v3, 44, v40
	v_add_f64 v[36:37], v[210:211], v[36:37]
	v_fmac_f64_e32 v[212:213], s[8:9], v[110:111]
	global_store_dwordx4 v[0:1], v[86:89], off
	v_mad_u64_u32 v[0:1], s[0:1], s12, v3, 0
	v_add_f64 v[136:137], v[212:213], v[36:37]
	v_mov_b32_e32 v2, v1
	v_mul_f64 v[36:37], v[136:137], v[162:163]
	v_mad_u64_u32 v[2:3], s[0:1], s13, v3, v[2:3]
	v_fma_f64 v[36:37], v[34:35], v[160:161], -v[36:37]
	v_mul_f64 v[34:35], v[34:35], v[162:163]
	v_mov_b32_e32 v1, v2
	v_fmac_f64_e32 v[34:35], v[136:137], v[160:161]
	v_lshl_add_u64 v[0:1], v[0:1], 4, v[38:39]
	v_add_u32_e32 v3, 55, v40
	global_store_dwordx4 v[0:1], v[34:37], off
	v_mad_u64_u32 v[0:1], s[0:1], s12, v3, 0
	v_mov_b32_e32 v2, v1
	v_mad_u64_u32 v[2:3], s[0:1], s13, v3, v[2:3]
	v_mov_b32_e32 v1, v2
	v_lshl_add_u64 v[0:1], v[0:1], 4, v[38:39]
	v_add_u32_e32 v3, 0x42, v40
	global_store_dwordx4 v[0:1], v[26:29], off
	v_mad_u64_u32 v[0:1], s[0:1], s12, v3, 0
	v_add_f64 v[214:215], v[214:215], v[24:25]
	v_mov_b32_e32 v2, v1
	v_mul_f64 v[24:25], v[214:215], v[150:151]
	v_mad_u64_u32 v[2:3], s[0:1], s13, v3, v[2:3]
	v_fma_f64 v[24:25], v[22:23], v[148:149], -v[24:25]
	v_mul_f64 v[22:23], v[22:23], v[150:151]
	v_mov_b32_e32 v1, v2
	v_fmac_f64_e32 v[22:23], v[214:215], v[148:149]
	v_lshl_add_u64 v[0:1], v[0:1], 4, v[38:39]
	v_add_u32_e32 v3, 0x4d, v40
	global_store_dwordx4 v[0:1], v[22:25], off
	v_mad_u64_u32 v[0:1], s[0:1], s12, v3, 0
	v_mov_b32_e32 v2, v1
	v_mad_u64_u32 v[2:3], s[0:1], s13, v3, v[2:3]
	v_mov_b32_e32 v1, v2
	v_lshl_add_u64 v[0:1], v[0:1], 4, v[38:39]
	v_add_u32_e32 v3, 0x58, v40
	global_store_dwordx4 v[0:1], v[18:21], off
	v_mad_u64_u32 v[0:1], s[0:1], s12, v3, 0
	v_mov_b32_e32 v2, v1
	v_mad_u64_u32 v[2:3], s[0:1], s13, v3, v[2:3]
	v_mov_b32_e32 v1, v2
	v_lshl_add_u64 v[0:1], v[0:1], 4, v[38:39]
	v_add_u32_e32 v3, 0x63, v40
	global_store_dwordx4 v[0:1], v[14:17], off
	v_mad_u64_u32 v[0:1], s[0:1], s12, v3, 0
	v_mov_b32_e32 v2, v1
	v_mad_u64_u32 v[2:3], s[0:1], s13, v3, v[2:3]
	v_mov_b32_e32 v1, v2
	v_lshl_add_u64 v[0:1], v[0:1], 4, v[38:39]
	v_add_u32_e32 v3, 0x6e, v40
	global_store_dwordx4 v[0:1], v[10:13], off
	v_mad_u64_u32 v[0:1], s[0:1], s12, v3, 0
	v_mov_b32_e32 v2, v1
	v_mad_u64_u32 v[2:3], s[0:1], s13, v3, v[2:3]
	v_mov_b32_e32 v1, v2
	v_lshl_add_u64 v[0:1], v[0:1], 4, v[38:39]
	global_store_dwordx4 v[0:1], v[6:9], off
.LBB0_38:
	s_endpgm
	.section	.rodata,"a",@progbits
	.p2align	6, 0x0
	.amdhsa_kernel fft_rtc_back_len121_factors_11_11_wgs_121_tpt_11_dp_ip_CI_sbcc_twdbase5_3step_dirReg_intrinsicRead
		.amdhsa_group_segment_fixed_size 0
		.amdhsa_private_segment_fixed_size 0
		.amdhsa_kernarg_size 96
		.amdhsa_user_sgpr_count 2
		.amdhsa_user_sgpr_dispatch_ptr 0
		.amdhsa_user_sgpr_queue_ptr 0
		.amdhsa_user_sgpr_kernarg_segment_ptr 1
		.amdhsa_user_sgpr_dispatch_id 0
		.amdhsa_user_sgpr_kernarg_preload_length 0
		.amdhsa_user_sgpr_kernarg_preload_offset 0
		.amdhsa_user_sgpr_private_segment_size 0
		.amdhsa_uses_dynamic_stack 0
		.amdhsa_enable_private_segment 0
		.amdhsa_system_sgpr_workgroup_id_x 1
		.amdhsa_system_sgpr_workgroup_id_y 0
		.amdhsa_system_sgpr_workgroup_id_z 0
		.amdhsa_system_sgpr_workgroup_info 0
		.amdhsa_system_vgpr_workitem_id 0
		.amdhsa_next_free_vgpr 216
		.amdhsa_next_free_sgpr 43
		.amdhsa_accum_offset 216
		.amdhsa_reserve_vcc 1
		.amdhsa_float_round_mode_32 0
		.amdhsa_float_round_mode_16_64 0
		.amdhsa_float_denorm_mode_32 3
		.amdhsa_float_denorm_mode_16_64 3
		.amdhsa_dx10_clamp 1
		.amdhsa_ieee_mode 1
		.amdhsa_fp16_overflow 0
		.amdhsa_tg_split 0
		.amdhsa_exception_fp_ieee_invalid_op 0
		.amdhsa_exception_fp_denorm_src 0
		.amdhsa_exception_fp_ieee_div_zero 0
		.amdhsa_exception_fp_ieee_overflow 0
		.amdhsa_exception_fp_ieee_underflow 0
		.amdhsa_exception_fp_ieee_inexact 0
		.amdhsa_exception_int_div_zero 0
	.end_amdhsa_kernel
	.text
.Lfunc_end0:
	.size	fft_rtc_back_len121_factors_11_11_wgs_121_tpt_11_dp_ip_CI_sbcc_twdbase5_3step_dirReg_intrinsicRead, .Lfunc_end0-fft_rtc_back_len121_factors_11_11_wgs_121_tpt_11_dp_ip_CI_sbcc_twdbase5_3step_dirReg_intrinsicRead
                                        ; -- End function
	.section	.AMDGPU.csdata,"",@progbits
; Kernel info:
; codeLenInByte = 9984
; NumSgprs: 49
; NumVgprs: 216
; NumAgprs: 0
; TotalNumVgprs: 216
; ScratchSize: 0
; MemoryBound: 0
; FloatMode: 240
; IeeeMode: 1
; LDSByteSize: 0 bytes/workgroup (compile time only)
; SGPRBlocks: 6
; VGPRBlocks: 26
; NumSGPRsForWavesPerEU: 49
; NumVGPRsForWavesPerEU: 216
; AccumOffset: 216
; Occupancy: 2
; WaveLimiterHint : 1
; COMPUTE_PGM_RSRC2:SCRATCH_EN: 0
; COMPUTE_PGM_RSRC2:USER_SGPR: 2
; COMPUTE_PGM_RSRC2:TRAP_HANDLER: 0
; COMPUTE_PGM_RSRC2:TGID_X_EN: 1
; COMPUTE_PGM_RSRC2:TGID_Y_EN: 0
; COMPUTE_PGM_RSRC2:TGID_Z_EN: 0
; COMPUTE_PGM_RSRC2:TIDIG_COMP_CNT: 0
; COMPUTE_PGM_RSRC3_GFX90A:ACCUM_OFFSET: 53
; COMPUTE_PGM_RSRC3_GFX90A:TG_SPLIT: 0
	.text
	.p2alignl 6, 3212836864
	.fill 256, 4, 3212836864
	.type	__hip_cuid_1a8a505d4c03e3d0,@object ; @__hip_cuid_1a8a505d4c03e3d0
	.section	.bss,"aw",@nobits
	.globl	__hip_cuid_1a8a505d4c03e3d0
__hip_cuid_1a8a505d4c03e3d0:
	.byte	0                               ; 0x0
	.size	__hip_cuid_1a8a505d4c03e3d0, 1

	.ident	"AMD clang version 19.0.0git (https://github.com/RadeonOpenCompute/llvm-project roc-6.4.0 25133 c7fe45cf4b819c5991fe208aaa96edf142730f1d)"
	.section	".note.GNU-stack","",@progbits
	.addrsig
	.addrsig_sym __hip_cuid_1a8a505d4c03e3d0
	.amdgpu_metadata
---
amdhsa.kernels:
  - .agpr_count:     0
    .args:
      - .actual_access:  read_only
        .address_space:  global
        .offset:         0
        .size:           8
        .value_kind:     global_buffer
      - .address_space:  global
        .offset:         8
        .size:           8
        .value_kind:     global_buffer
      - .offset:         16
        .size:           8
        .value_kind:     by_value
      - .actual_access:  read_only
        .address_space:  global
        .offset:         24
        .size:           8
        .value_kind:     global_buffer
      - .actual_access:  read_only
        .address_space:  global
        .offset:         32
        .size:           8
        .value_kind:     global_buffer
      - .offset:         40
        .size:           8
        .value_kind:     by_value
      - .actual_access:  read_only
        .address_space:  global
        .offset:         48
        .size:           8
        .value_kind:     global_buffer
      - .actual_access:  read_only
        .address_space:  global
        .offset:         56
        .size:           8
        .value_kind:     global_buffer
      - .offset:         64
        .size:           4
        .value_kind:     by_value
      - .actual_access:  read_only
        .address_space:  global
        .offset:         72
        .size:           8
        .value_kind:     global_buffer
      - .actual_access:  read_only
        .address_space:  global
        .offset:         80
        .size:           8
        .value_kind:     global_buffer
      - .address_space:  global
        .offset:         88
        .size:           8
        .value_kind:     global_buffer
    .group_segment_fixed_size: 0
    .kernarg_segment_align: 8
    .kernarg_segment_size: 96
    .language:       OpenCL C
    .language_version:
      - 2
      - 0
    .max_flat_workgroup_size: 121
    .name:           fft_rtc_back_len121_factors_11_11_wgs_121_tpt_11_dp_ip_CI_sbcc_twdbase5_3step_dirReg_intrinsicRead
    .private_segment_fixed_size: 0
    .sgpr_count:     49
    .sgpr_spill_count: 0
    .symbol:         fft_rtc_back_len121_factors_11_11_wgs_121_tpt_11_dp_ip_CI_sbcc_twdbase5_3step_dirReg_intrinsicRead.kd
    .uniform_work_group_size: 1
    .uses_dynamic_stack: false
    .vgpr_count:     216
    .vgpr_spill_count: 0
    .wavefront_size: 64
amdhsa.target:   amdgcn-amd-amdhsa--gfx950
amdhsa.version:
  - 1
  - 2
...

	.end_amdgpu_metadata
